;; amdgpu-corpus repo=ROCm/rocFFT kind=compiled arch=gfx1201 opt=O3
	.text
	.amdgcn_target "amdgcn-amd-amdhsa--gfx1201"
	.amdhsa_code_object_version 6
	.protected	bluestein_single_fwd_len132_dim1_dp_op_CI_CI ; -- Begin function bluestein_single_fwd_len132_dim1_dp_op_CI_CI
	.globl	bluestein_single_fwd_len132_dim1_dp_op_CI_CI
	.p2align	8
	.type	bluestein_single_fwd_len132_dim1_dp_op_CI_CI,@function
bluestein_single_fwd_len132_dim1_dp_op_CI_CI: ; @bluestein_single_fwd_len132_dim1_dp_op_CI_CI
; %bb.0:
	s_load_b128 s[8:11], s[0:1], 0x28
	v_mul_u32_u24_e32 v1, 0xba3, v0
	s_mov_b32 s2, exec_lo
	s_delay_alu instid0(VALU_DEP_1) | instskip(NEXT) | instid1(VALU_DEP_1)
	v_lshrrev_b32_e32 v1, 16, v1
	v_mad_co_u64_u32 v[76:77], null, ttmp9, 5, v[1:2]
	v_mov_b32_e32 v77, 0
	s_wait_kmcnt 0x0
	s_delay_alu instid0(VALU_DEP_1)
	v_cmpx_gt_u64_e64 s[8:9], v[76:77]
	s_cbranch_execz .LBB0_15
; %bb.1:
	v_mul_hi_u32 v2, 0xcccccccd, v76
	v_mul_lo_u16 v1, v1, 22
	s_clause 0x1
	s_load_b64 s[12:13], s[0:1], 0x0
	s_load_b64 s[8:9], s[0:1], 0x38
	s_delay_alu instid0(VALU_DEP_1) | instskip(NEXT) | instid1(VALU_DEP_3)
	v_sub_nc_u16 v0, v0, v1
	v_lshrrev_b32_e32 v2, 2, v2
	s_delay_alu instid0(VALU_DEP_2) | instskip(SKIP_1) | instid1(VALU_DEP_3)
	v_and_b32_e32 v187, 0xffff, v0
	v_cmp_gt_u16_e32 vcc_lo, 12, v0
	v_lshl_add_u32 v2, v2, 2, v2
	s_delay_alu instid0(VALU_DEP_3) | instskip(SKIP_1) | instid1(VALU_DEP_3)
	v_lshlrev_b32_e32 v189, 4, v187
	v_or_b32_e32 v185, 48, v187
	v_sub_nc_u32_e32 v1, v76, v2
	v_or_b32_e32 v186, 0x60, v187
	s_delay_alu instid0(VALU_DEP_2) | instskip(NEXT) | instid1(VALU_DEP_1)
	v_mul_u32_u24_e32 v188, 0x84, v1
	v_lshlrev_b32_e32 v190, 4, v188
	s_and_saveexec_b32 s3, vcc_lo
	s_cbranch_execz .LBB0_3
; %bb.2:
	s_load_b64 s[4:5], s[0:1], 0x18
	s_wait_kmcnt 0x0
	s_load_b128 s[4:7], s[4:5], 0x0
	s_wait_kmcnt 0x0
	v_mad_co_u64_u32 v[4:5], null, s6, v76, 0
	v_mad_co_u64_u32 v[6:7], null, s4, v187, 0
	;; [unrolled: 1-line block ×4, first 2 shown]
	s_delay_alu instid0(VALU_DEP_3) | instskip(NEXT) | instid1(VALU_DEP_1)
	v_dual_mov_b32 v0, v5 :: v_dual_mov_b32 v1, v7
	v_mad_co_u64_u32 v[2:3], null, s7, v76, v[0:1]
	s_mul_u64 s[6:7], s[4:5], 0xc0
	s_delay_alu instid0(VALU_DEP_1) | instskip(SKIP_4) | instid1(VALU_DEP_2)
	v_mov_b32_e32 v5, v2
	v_mad_co_u64_u32 v[7:8], null, s5, v187, v[1:2]
	global_load_b128 v[0:3], v189, s[12:13] offset:1536
	v_lshlrev_b64_e32 v[4:5], 4, v[4:5]
	v_lshlrev_b64_e32 v[6:7], 4, v[6:7]
	v_add_co_u32 v36, s2, s10, v4
	v_mov_b32_e32 v4, v29
	s_delay_alu instid0(VALU_DEP_4) | instskip(NEXT) | instid1(VALU_DEP_3)
	v_add_co_ci_u32_e64 v37, s2, s11, v5, s2
	v_add_co_u32 v32, s2, v36, v6
	v_mov_b32_e32 v5, v31
	s_wait_alu 0xf1ff
	s_delay_alu instid0(VALU_DEP_3)
	v_add_co_ci_u32_e64 v33, s2, v37, v7, s2
	s_wait_alu 0xfffe
	v_add_co_u32 v48, s2, v32, s6
	v_mad_co_u64_u32 v[20:21], null, s5, v185, v[4:5]
	s_wait_alu 0xf1ff
	v_add_co_ci_u32_e64 v49, s2, s7, v33, s2
	s_delay_alu instid0(VALU_DEP_3) | instskip(SKIP_2) | instid1(VALU_DEP_3)
	v_add_co_u32 v52, s2, v48, s6
	v_mad_co_u64_u32 v[21:22], null, s5, v186, v[5:6]
	s_wait_alu 0xf1ff
	v_add_co_ci_u32_e64 v53, s2, s7, v49, s2
	s_delay_alu instid0(VALU_DEP_3) | instskip(SKIP_2) | instid1(VALU_DEP_3)
	v_add_co_u32 v56, s2, v52, s6
	v_mov_b32_e32 v29, v20
	s_wait_alu 0xf1ff
	v_add_co_ci_u32_e64 v57, s2, s7, v53, s2
	s_mulk_i32 s5, 0x180
	v_mov_b32_e32 v31, v21
	v_lshlrev_b64_e32 v[28:29], 4, v[28:29]
	s_delay_alu instid0(VALU_DEP_3)
	v_mad_co_u64_u32 v[60:61], null, 0x180, s4, v[56:57]
	s_clause 0x1
	global_load_b128 v[4:7], v189, s[12:13]
	global_load_b128 v[8:11], v189, s[12:13] offset:192
	v_lshlrev_b64_e32 v[30:31], 4, v[30:31]
	s_clause 0x3
	global_load_b128 v[12:15], v189, s[12:13] offset:384
	global_load_b128 v[16:19], v189, s[12:13] offset:576
	;; [unrolled: 1-line block ×4, first 2 shown]
	s_wait_alu 0xfffe
	v_add_nc_u32_e32 v61, s5, v61
	v_add_co_u32 v64, s2, v60, s6
	s_wait_alu 0xf1ff
	s_delay_alu instid0(VALU_DEP_2)
	v_add_co_ci_u32_e64 v65, s2, s7, v61, s2
	v_add_co_u32 v34, s2, v36, v28
	s_wait_alu 0xf1ff
	v_add_co_ci_u32_e64 v35, s2, v37, v29, s2
	v_add_co_u32 v68, s2, v64, s6
	s_wait_alu 0xf1ff
	;; [unrolled: 3-line block ×3, first 2 shown]
	v_add_co_ci_u32_e64 v37, s2, v37, v31, s2
	s_delay_alu instid0(VALU_DEP_3)
	v_mad_co_u64_u32 v[77:78], null, 0x180, s4, v[68:69]
	s_clause 0x2
	global_load_b128 v[28:31], v[32:33], off
	global_load_b128 v[32:35], v[34:35], off
	;; [unrolled: 1-line block ×3, first 2 shown]
	s_clause 0x1
	global_load_b128 v[40:43], v189, s[12:13] offset:1152
	global_load_b128 v[44:47], v189, s[12:13] offset:1344
	s_clause 0x3
	global_load_b128 v[48:51], v[48:49], off
	global_load_b128 v[52:55], v[52:53], off
	;; [unrolled: 1-line block ×5, first 2 shown]
	v_add_nc_u32_e32 v78, s5, v78
	v_add_co_u32 v85, s2, v77, s6
	s_wait_alu 0xf1ff
	s_delay_alu instid0(VALU_DEP_2)
	v_add_co_ci_u32_e64 v86, s2, s7, v78, s2
	global_load_b128 v[68:71], v[68:69], off
	global_load_b128 v[72:75], v189, s[12:13] offset:1728
	global_load_b128 v[77:80], v[77:78], off
	global_load_b128 v[81:84], v189, s[12:13] offset:1920
	global_load_b128 v[85:88], v[85:86], off
	s_wait_loadcnt 0xc
	v_mul_f64_e32 v[93:94], v[38:39], v[2:3]
	v_mul_f64_e32 v[95:96], v[36:37], v[2:3]
	s_wait_loadcnt 0x9
	v_mul_f64_e32 v[97:98], v[50:51], v[10:11]
	v_mul_f64_e32 v[89:90], v[30:31], v[6:7]
	;; [unrolled: 1-line block ×4, first 2 shown]
	s_wait_loadcnt 0x8
	v_mul_f64_e32 v[99:100], v[54:55], v[14:15]
	v_mul_f64_e32 v[14:15], v[52:53], v[14:15]
	s_wait_loadcnt 0x7
	v_mul_f64_e32 v[101:102], v[58:59], v[18:19]
	v_mul_f64_e32 v[103:104], v[56:57], v[18:19]
	;; [unrolled: 1-line block ×4, first 2 shown]
	s_wait_loadcnt 0x6
	v_mul_f64_e32 v[105:106], v[62:63], v[26:27]
	v_mul_f64_e32 v[107:108], v[60:61], v[26:27]
	s_wait_loadcnt 0x5
	v_mul_f64_e32 v[109:110], v[66:67], v[42:43]
	v_mul_f64_e32 v[42:43], v[64:65], v[42:43]
	s_wait_loadcnt 0x4
	v_mul_f64_e32 v[111:112], v[70:71], v[46:47]
	v_mul_f64_e32 v[46:47], v[68:69], v[46:47]
	s_wait_loadcnt 0x2
	v_mul_f64_e32 v[113:114], v[79:80], v[74:75]
	v_mul_f64_e32 v[74:75], v[77:78], v[74:75]
	s_wait_loadcnt 0x0
	v_mul_f64_e32 v[115:116], v[87:88], v[83:84]
	v_mul_f64_e32 v[83:84], v[85:86], v[83:84]
	v_fma_f64 v[26:27], v[36:37], v[0:1], v[93:94]
	v_fma_f64 v[2:3], v[28:29], v[4:5], v[89:90]
	v_fma_f64 v[4:5], v[30:31], v[4:5], -v[6:7]
	v_fma_f64 v[6:7], v[48:49], v[8:9], v[97:98]
	v_fma_f64 v[8:9], v[50:51], v[8:9], -v[10:11]
	;; [unrolled: 2-line block ×8, first 2 shown]
	v_fma_f64 v[28:29], v[38:39], v[0:1], -v[95:96]
	v_fma_f64 v[38:39], v[77:78], v[72:73], v[113:114]
	v_fma_f64 v[40:41], v[79:80], v[72:73], -v[74:75]
	v_fma_f64 v[42:43], v[85:86], v[81:82], v[115:116]
	v_fma_f64 v[44:45], v[87:88], v[81:82], -v[83:84]
	v_lshl_add_u32 v0, v187, 4, v190
	v_add_nc_u32_e32 v1, v190, v189
	ds_store_b128 v0, v[2:5]
	ds_store_b128 v1, v[6:9] offset:192
	ds_store_b128 v1, v[10:13] offset:384
	ds_store_b128 v1, v[14:17] offset:576
	ds_store_b128 v1, v[18:21] offset:768
	ds_store_b128 v1, v[22:25] offset:960
	ds_store_b128 v1, v[30:33] offset:1152
	ds_store_b128 v1, v[34:37] offset:1344
	ds_store_b128 v1, v[26:29] offset:1536
	ds_store_b128 v1, v[38:41] offset:1728
	ds_store_b128 v1, v[42:45] offset:1920
.LBB0_3:
	s_or_b32 exec_lo, exec_lo, s3
	s_clause 0x1
	s_load_b64 s[4:5], s[0:1], 0x20
	s_load_b64 s[2:3], s[0:1], 0x8
	global_wb scope:SCOPE_SE
	s_wait_dscnt 0x0
	s_wait_kmcnt 0x0
	s_barrier_signal -1
	s_barrier_wait -1
	global_inv scope:SCOPE_SE
                                        ; implicit-def: $vgpr20_vgpr21
                                        ; implicit-def: $vgpr44_vgpr45
                                        ; implicit-def: $vgpr48_vgpr49
                                        ; implicit-def: $vgpr56_vgpr57
                                        ; implicit-def: $vgpr60_vgpr61
                                        ; implicit-def: $vgpr52_vgpr53
                                        ; implicit-def: $vgpr40_vgpr41
                                        ; implicit-def: $vgpr36_vgpr37
                                        ; implicit-def: $vgpr32_vgpr33
                                        ; implicit-def: $vgpr24_vgpr25
                                        ; implicit-def: $vgpr28_vgpr29
	s_and_saveexec_b32 s0, vcc_lo
	s_cbranch_execz .LBB0_5
; %bb.4:
	v_lshl_add_u32 v0, v188, 4, v189
	ds_load_b128 v[20:23], v0
	ds_load_b128 v[44:47], v0 offset:192
	ds_load_b128 v[48:51], v0 offset:384
	;; [unrolled: 1-line block ×10, first 2 shown]
.LBB0_5:
	s_wait_alu 0xfffe
	s_or_b32 exec_lo, exec_lo, s0
	s_wait_dscnt 0x0
	v_add_f64_e64 v[0:1], v[46:47], -v[30:31]
	v_add_f64_e64 v[2:3], v[44:45], -v[28:29]
	s_mov_b32 s18, 0xf8bb580b
	s_mov_b32 s22, 0x43842ef
	;; [unrolled: 1-line block ×10, first 2 shown]
	v_add_f64_e32 v[64:65], v[44:45], v[28:29]
	v_add_f64_e32 v[66:67], v[46:47], v[30:31]
	v_add_f64_e64 v[4:5], v[50:51], -v[26:27]
	v_add_f64_e64 v[6:7], v[48:49], -v[24:25]
	s_mov_b32 s0, 0x8764f0ba
	s_mov_b32 s10, 0xd9c712b6
	;; [unrolled: 1-line block ×16, first 2 shown]
	v_add_f64_e32 v[153:154], v[48:49], v[24:25]
	v_add_f64_e32 v[157:158], v[50:51], v[26:27]
	;; [unrolled: 1-line block ×4, first 2 shown]
	v_add_f64_e64 v[139:140], v[60:61], -v[36:37]
	v_add_f64_e64 v[145:146], v[62:63], -v[38:39]
	v_mul_f64_e32 v[68:69], s[18:19], v[0:1]
	v_mul_f64_e32 v[70:71], s[18:19], v[2:3]
	v_mul_f64_e32 v[72:73], s[20:21], v[0:1]
	v_mul_f64_e32 v[74:75], s[20:21], v[2:3]
	v_mul_f64_e32 v[77:78], s[22:23], v[0:1]
	v_mul_f64_e32 v[79:80], s[22:23], v[2:3]
	v_mul_f64_e32 v[81:82], s[24:25], v[0:1]
	v_mul_f64_e32 v[83:84], s[24:25], v[2:3]
	v_mul_f64_e32 v[117:118], s[26:27], v[0:1]
	v_mul_f64_e32 v[141:142], s[26:27], v[2:3]
	v_add_f64_e64 v[0:1], v[58:59], -v[34:35]
	v_add_f64_e64 v[2:3], v[56:57], -v[32:33]
	v_add_f64_e32 v[177:178], v[60:61], v[36:37]
	v_add_f64_e32 v[179:180], v[62:63], v[38:39]
	v_mul_f64_e32 v[93:94], s[20:21], v[4:5]
	v_mul_f64_e32 v[97:98], s[20:21], v[6:7]
	;; [unrolled: 1-line block ×10, first 2 shown]
	s_mov_b32 s21, 0x3fed1bb4
	v_add_f64_e64 v[191:192], v[52:53], -v[40:41]
	v_add_f64_e64 v[193:194], v[54:55], -v[42:43]
	global_wb scope:SCOPE_SE
	s_barrier_signal -1
	s_barrier_wait -1
	global_inv scope:SCOPE_SE
	v_mul_f64_e32 v[111:112], s[34:35], v[139:140]
	v_mul_f64_e32 v[105:106], s[34:35], v[145:146]
	s_wait_alu 0xfffe
	v_fma_f64 v[4:5], v[64:65], s[0:1], v[68:69]
	v_fma_f64 v[6:7], v[66:67], s[0:1], -v[70:71]
	v_fma_f64 v[8:9], v[64:65], s[10:11], v[72:73]
	v_fma_f64 v[10:11], v[66:67], s[10:11], -v[74:75]
	;; [unrolled: 2-line block ×5, first 2 shown]
	v_mul_f64_e32 v[85:86], s[22:23], v[0:1]
	v_mul_f64_e32 v[87:88], s[22:23], v[2:3]
	;; [unrolled: 1-line block ×10, first 2 shown]
	v_fma_f64 v[0:1], v[153:154], s[10:11], v[93:94]
	v_fma_f64 v[2:3], v[157:158], s[10:11], -v[97:98]
	v_fma_f64 v[151:152], v[153:154], s[14:15], v[103:104]
	v_fma_f64 v[155:156], v[157:158], s[14:15], -v[109:110]
	;; [unrolled: 2-line block ×5, first 2 shown]
	v_mul_f64_e32 v[115:116], s[18:19], v[145:146]
	v_mul_f64_e32 v[125:126], s[18:19], v[139:140]
	;; [unrolled: 1-line block ×6, first 2 shown]
	v_fma_f64 v[217:218], v[179:180], s[6:7], -v[111:112]
	v_fma_f64 v[215:216], v[177:178], s[6:7], v[105:106]
	v_add_f64_e32 v[4:5], v[20:21], v[4:5]
	v_add_f64_e32 v[6:7], v[22:23], v[6:7]
	;; [unrolled: 1-line block ×10, first 2 shown]
	v_mul_f64_e32 v[95:96], s[24:25], v[145:146]
	v_mul_f64_e32 v[99:100], s[24:25], v[139:140]
	v_fma_f64 v[195:196], v[169:170], s[6:7], v[85:86]
	v_fma_f64 v[197:198], v[171:172], s[6:7], -v[87:88]
	v_fma_f64 v[199:200], v[169:170], s[16:17], v[89:90]
	v_fma_f64 v[201:202], v[171:172], s[16:17], -v[91:92]
	;; [unrolled: 2-line block ×5, first 2 shown]
	v_mul_f64_e32 v[139:140], s[26:27], v[193:194]
	v_mul_f64_e32 v[145:146], s[26:27], v[191:192]
	v_fma_f64 v[219:220], v[177:178], s[0:1], v[115:116]
	v_fma_f64 v[221:222], v[179:180], s[0:1], -v[125:126]
	v_fma_f64 v[223:224], v[177:178], s[16:17], v[131:132]
	v_fma_f64 v[225:226], v[179:180], s[16:17], -v[137:138]
	;; [unrolled: 2-line block ×3, first 2 shown]
	v_add_f64_e32 v[0:1], v[0:1], v[4:5]
	v_add_f64_e32 v[2:3], v[2:3], v[6:7]
	;; [unrolled: 1-line block ×12, first 2 shown]
	v_mul_f64_e32 v[151:152], s[28:29], v[193:194]
	v_mul_f64_e32 v[155:156], s[28:29], v[191:192]
	;; [unrolled: 1-line block ×8, first 2 shown]
	v_fma_f64 v[191:192], v[177:178], s[14:15], v[95:96]
	v_fma_f64 v[193:194], v[179:180], s[14:15], -v[99:100]
	v_add_f64_e32 v[0:1], v[195:196], v[0:1]
	v_add_f64_e32 v[2:3], v[197:198], v[2:3]
	v_add_f64_e32 v[4:5], v[199:200], v[4:5]
	v_add_f64_e32 v[6:7], v[201:202], v[6:7]
	v_add_f64_e32 v[8:9], v[211:212], v[8:9]
	v_add_f64_e32 v[10:11], v[213:214], v[10:11]
	v_add_f64_e32 v[12:13], v[203:204], v[12:13]
	v_add_f64_e32 v[14:15], v[205:206], v[14:15]
	v_add_f64_e32 v[16:17], v[207:208], v[16:17]
	v_add_f64_e32 v[18:19], v[209:210], v[18:19]
	v_fma_f64 v[195:196], v[181:182], s[16:17], v[139:140]
	v_fma_f64 v[197:198], v[183:184], s[16:17], -v[145:146]
	v_fma_f64 v[199:200], v[181:182], s[0:1], v[151:152]
	v_fma_f64 v[201:202], v[183:184], s[0:1], -v[155:156]
	;; [unrolled: 2-line block ×5, first 2 shown]
	v_add_f64_e32 v[0:1], v[191:192], v[0:1]
	v_add_f64_e32 v[2:3], v[193:194], v[2:3]
	;; [unrolled: 1-line block ×10, first 2 shown]
	v_mul_lo_u16 v191, v187, 11
	v_add_f64_e32 v[0:1], v[195:196], v[0:1]
	v_add_f64_e32 v[2:3], v[197:198], v[2:3]
	;; [unrolled: 1-line block ×10, first 2 shown]
	s_and_saveexec_b32 s18, vcc_lo
	s_cbranch_execz .LBB0_7
; %bb.6:
	v_add_f64_e32 v[46:47], v[22:23], v[46:47]
	v_add_f64_e32 v[44:45], v[20:21], v[44:45]
	v_mul_f64_e32 v[194:195], s[10:11], v[66:67]
	v_mul_f64_e32 v[196:197], s[10:11], v[64:65]
	;; [unrolled: 1-line block ×10, first 2 shown]
	v_add_f64_e32 v[46:47], v[46:47], v[50:51]
	v_add_f64_e32 v[44:45], v[44:45], v[48:49]
	v_mul_f64_e32 v[48:49], s[16:17], v[66:67]
	v_mul_f64_e32 v[50:51], s[16:17], v[64:65]
	v_add_f64_e32 v[74:75], v[74:75], v[194:195]
	v_add_f64_e64 v[72:73], v[196:197], -v[72:73]
	v_add_f64_e32 v[79:80], v[79:80], v[192:193]
	v_add_f64_e64 v[77:78], v[198:199], -v[77:78]
	v_add_f64_e32 v[109:110], v[109:110], v[208:209]
	v_add_f64_e64 v[103:104], v[210:211], -v[103:104]
	v_add_f64_e32 v[119:120], v[119:120], v[204:205]
	v_add_f64_e64 v[113:114], v[206:207], -v[113:114]
	v_add_f64_e32 v[133:134], v[133:134], v[200:201]
	v_add_f64_e64 v[127:128], v[202:203], -v[127:128]
	v_add_f64_e32 v[46:47], v[46:47], v[58:59]
	v_add_f64_e32 v[44:45], v[44:45], v[56:57]
	v_mul_f64_e32 v[56:57], s[14:15], v[66:67]
	v_mul_f64_e32 v[58:59], s[14:15], v[64:65]
	;; [unrolled: 1-line block ×3, first 2 shown]
	v_add_f64_e32 v[48:49], v[141:142], v[48:49]
	v_add_f64_e64 v[50:51], v[50:51], -v[117:118]
	v_mul_f64_e32 v[117:118], s[0:1], v[169:170]
	v_mul_f64_e32 v[141:142], s[0:1], v[171:172]
	v_add_f64_e32 v[74:75], v[22:23], v[74:75]
	v_add_f64_e32 v[72:73], v[20:21], v[72:73]
	v_add_f64_e32 v[79:80], v[22:23], v[79:80]
	v_add_f64_e32 v[77:78], v[20:21], v[77:78]
	v_add_f64_e32 v[46:47], v[46:47], v[62:63]
	v_add_f64_e32 v[44:45], v[44:45], v[60:61]
	v_mul_f64_e32 v[60:61], s[0:1], v[64:65]
	v_mul_f64_e32 v[62:63], s[0:1], v[157:158]
	;; [unrolled: 1-line block ×3, first 2 shown]
	v_add_f64_e32 v[56:57], v[83:84], v[56:57]
	v_add_f64_e64 v[58:59], v[58:59], -v[81:82]
	v_mul_f64_e32 v[157:158], s[10:11], v[157:158]
	v_mul_f64_e32 v[153:154], s[10:11], v[153:154]
	v_add_f64_e32 v[66:67], v[70:71], v[66:67]
	v_mul_f64_e32 v[70:71], s[16:17], v[171:172]
	v_mul_f64_e32 v[81:82], s[10:11], v[169:170]
	;; [unrolled: 1-line block ×3, first 2 shown]
	v_add_f64_e32 v[48:49], v[22:23], v[48:49]
	v_add_f64_e32 v[50:51], v[20:21], v[50:51]
	v_add_f64_e32 v[72:73], v[103:104], v[72:73]
	v_add_f64_e32 v[107:108], v[107:108], v[141:142]
	v_add_f64_e64 v[101:102], v[117:118], -v[101:102]
	v_add_f64_e32 v[46:47], v[46:47], v[54:55]
	v_add_f64_e32 v[44:45], v[44:45], v[52:53]
	v_add_f64_e64 v[52:53], v[60:61], -v[68:69]
	v_mul_f64_e32 v[54:55], s[6:7], v[169:170]
	v_mul_f64_e32 v[60:61], s[6:7], v[171:172]
	;; [unrolled: 1-line block ×5, first 2 shown]
	v_add_f64_e32 v[62:63], v[147:148], v[62:63]
	v_add_f64_e64 v[64:65], v[64:65], -v[143:144]
	v_add_f64_e32 v[56:57], v[22:23], v[56:57]
	v_add_f64_e32 v[58:59], v[20:21], v[58:59]
	;; [unrolled: 1-line block ×3, first 2 shown]
	v_add_f64_e64 v[93:94], v[153:154], -v[93:94]
	v_add_f64_e32 v[22:23], v[22:23], v[66:67]
	v_mul_f64_e32 v[66:67], s[6:7], v[179:180]
	v_mul_f64_e32 v[143:144], s[0:1], v[177:178]
	;; [unrolled: 1-line block ×5, first 2 shown]
	v_add_f64_e32 v[70:71], v[91:92], v[70:71]
	v_add_f64_e32 v[83:84], v[129:130], v[83:84]
	v_add_f64_e64 v[81:82], v[81:82], -v[121:122]
	v_mul_f64_e32 v[91:92], s[10:11], v[183:184]
	v_add_f64_e32 v[42:43], v[46:47], v[42:43]
	v_add_f64_e32 v[40:41], v[44:45], v[40:41]
	;; [unrolled: 1-line block ×3, first 2 shown]
	v_mul_f64_e32 v[44:45], s[14:15], v[177:178]
	v_mul_f64_e32 v[46:47], s[14:15], v[179:180]
	;; [unrolled: 1-line block ×5, first 2 shown]
	v_add_f64_e32 v[135:136], v[135:136], v[171:172]
	v_add_f64_e64 v[123:124], v[169:170], -v[123:124]
	v_add_f64_e64 v[68:69], v[68:69], -v[89:90]
	v_add_f64_e32 v[48:49], v[62:63], v[48:49]
	v_add_f64_e32 v[50:51], v[64:65], v[50:51]
	;; [unrolled: 1-line block ×8, first 2 shown]
	v_add_f64_e64 v[54:55], v[54:55], -v[85:86]
	v_add_f64_e32 v[22:23], v[97:98], v[22:23]
	v_mul_f64_e32 v[77:78], s[0:1], v[181:182]
	v_mul_f64_e32 v[79:80], s[0:1], v[183:184]
	v_mul_f64_e32 v[97:98], s[6:7], v[183:184]
	v_add_f64_e32 v[66:67], v[111:112], v[66:67]
	v_mul_f64_e32 v[85:86], s[14:15], v[181:182]
	v_mul_f64_e32 v[87:88], s[14:15], v[183:184]
	v_add_f64_e32 v[119:120], v[125:126], v[147:148]
	v_add_f64_e64 v[115:116], v[143:144], -v[115:116]
	v_mul_f64_e32 v[89:90], s[10:11], v[181:182]
	v_add_f64_e32 v[113:114], v[137:138], v[157:158]
	v_add_f64_e64 v[117:118], v[153:154], -v[131:132]
	v_add_f64_e32 v[38:39], v[42:43], v[38:39]
	v_add_f64_e32 v[36:37], v[40:41], v[36:37]
	;; [unrolled: 1-line block ×3, first 2 shown]
	v_mul_f64_e32 v[93:94], s[6:7], v[181:182]
	v_mul_f64_e32 v[40:41], s[16:17], v[181:182]
	v_add_f64_e64 v[52:53], v[52:53], -v[105:106]
	v_add_f64_e64 v[109:110], v[177:178], -v[149:150]
	v_add_f64_e32 v[103:104], v[159:160], v[179:180]
	v_mul_f64_e32 v[42:43], s[16:17], v[183:184]
	v_add_f64_e32 v[46:47], v[99:100], v[46:47]
	v_add_f64_e32 v[68:69], v[68:69], v[72:73]
	;; [unrolled: 1-line block ×9, first 2 shown]
	v_add_f64_e64 v[44:45], v[44:45], -v[95:96]
	v_add_f64_e32 v[22:23], v[60:61], v[22:23]
	v_add_f64_e64 v[77:78], v[77:78], -v[151:152]
	v_add_f64_e32 v[79:80], v[155:156], v[79:80]
	;; [unrolled: 2-line block ×4, first 2 shown]
	v_add_f64_e32 v[32:33], v[36:37], v[32:33]
	v_add_f64_e32 v[20:21], v[54:55], v[20:21]
	;; [unrolled: 1-line block ×3, first 2 shown]
	v_add_f64_e64 v[38:39], v[93:94], -v[167:168]
	v_add_f64_e32 v[54:55], v[173:174], v[91:92]
	v_add_f64_e64 v[40:41], v[40:41], -v[139:140]
	v_add_f64_e32 v[42:43], v[145:146], v[42:43]
	v_add_f64_e32 v[52:53], v[52:53], v[68:69]
	;; [unrolled: 1-line block ×25, first 2 shown]
	v_and_b32_e32 v44, 0xffff, v191
	s_delay_alu instid0(VALU_DEP_1)
	v_add_lshl_u32 v44, v188, v44, 4
	ds_store_b128 v44, v[16:19] offset:96
	ds_store_b128 v44, v[12:15] offset:112
	;; [unrolled: 1-line block ×8, first 2 shown]
	ds_store_b128 v44, v[28:31]
	ds_store_b128 v44, v[40:43] offset:16
	ds_store_b128 v44, v[0:3] offset:160
.LBB0_7:
	s_wait_alu 0xfffe
	s_or_b32 exec_lo, exec_lo, s18
	v_add_nc_u32_e32 v20, -11, v187
	v_cmp_gt_u16_e64 s0, 11, v187
	s_load_b128 s[4:7], s[4:5], 0x0
	global_wb scope:SCOPE_SE
	s_wait_dscnt 0x0
	s_wait_kmcnt 0x0
	s_barrier_signal -1
	s_barrier_wait -1
	v_cndmask_b32_e64 v77, v20, v187, s0
	global_inv scope:SCOPE_SE
	v_add_lshl_u32 v78, v188, v187, 4
	s_mov_b32 s11, 0xbfebb67a
	v_mul_i32_i24_e32 v20, 0x50, v77
	v_mul_hi_i32_i24_e32 v21, 0x50, v77
	s_delay_alu instid0(VALU_DEP_2) | instskip(SKIP_1) | instid1(VALU_DEP_2)
	v_add_co_u32 v28, s0, s2, v20
	s_wait_alu 0xf1ff
	v_add_co_ci_u32_e64 v29, s0, s3, v21, s0
	s_mov_b32 s0, 0xe8584caa
	s_mov_b32 s1, 0x3febb67a
	s_clause 0x4
	global_load_b128 v[20:23], v[28:29], off offset:32
	global_load_b128 v[36:39], v[28:29], off offset:64
	global_load_b128 v[24:27], v[28:29], off
	global_load_b128 v[32:35], v[28:29], off offset:16
	global_load_b128 v[28:31], v[28:29], off offset:48
	ds_load_b128 v[40:43], v78 offset:1056
	ds_load_b128 v[44:47], v78 offset:1760
	;; [unrolled: 1-line block ×3, first 2 shown]
	s_wait_alu 0xfffe
	s_mov_b32 s10, s0
	s_wait_loadcnt_dscnt 0x402
	v_mul_f64_e32 v[52:53], v[42:43], v[22:23]
	v_mul_f64_e32 v[54:55], v[40:41], v[22:23]
	s_wait_loadcnt_dscnt 0x301
	v_mul_f64_e32 v[56:57], v[44:45], v[38:39]
	v_mul_f64_e32 v[58:59], v[46:47], v[38:39]
	;; [unrolled: 3-line block ×3, first 2 shown]
	v_fma_f64 v[52:53], v[40:41], v[20:21], -v[52:53]
	v_fma_f64 v[54:55], v[42:43], v[20:21], v[54:55]
	v_fma_f64 v[56:57], v[46:47], v[36:37], v[56:57]
	v_fma_f64 v[58:59], v[44:45], v[36:37], -v[58:59]
	ds_load_b128 v[40:43], v78 offset:704
	ds_load_b128 v[44:47], v78 offset:1408
	v_fma_f64 v[48:49], v[48:49], v[24:25], -v[60:61]
	v_fma_f64 v[50:51], v[50:51], v[24:25], v[62:63]
	s_wait_loadcnt_dscnt 0x101
	v_mul_f64_e32 v[64:65], v[42:43], v[34:35]
	v_mul_f64_e32 v[66:67], v[40:41], v[34:35]
	s_wait_loadcnt_dscnt 0x0
	v_mul_f64_e32 v[68:69], v[46:47], v[30:31]
	v_mul_f64_e32 v[70:71], v[44:45], v[30:31]
	v_add_f64_e32 v[60:61], v[54:55], v[56:57]
	v_add_f64_e32 v[62:63], v[52:53], v[58:59]
	v_fma_f64 v[64:65], v[40:41], v[32:33], -v[64:65]
	v_fma_f64 v[66:67], v[42:43], v[32:33], v[66:67]
	v_fma_f64 v[44:45], v[44:45], v[28:29], -v[68:69]
	v_fma_f64 v[46:47], v[46:47], v[28:29], v[70:71]
	v_add_f64_e64 v[40:41], v[54:55], -v[56:57]
	v_add_f64_e64 v[42:43], v[52:53], -v[58:59]
	v_fma_f64 v[60:61], v[60:61], -0.5, v[50:51]
	v_fma_f64 v[62:63], v[62:63], -0.5, v[48:49]
	v_add_f64_e32 v[48:49], v[48:49], v[52:53]
	v_add_f64_e32 v[50:51], v[50:51], v[54:55]
	;; [unrolled: 1-line block ×4, first 2 shown]
	v_add_f64_e64 v[81:82], v[66:67], -v[46:47]
	v_add_f64_e64 v[52:53], v[64:65], -v[44:45]
	s_wait_alu 0xfffe
	v_fma_f64 v[72:73], v[42:43], s[10:11], v[60:61]
	v_fma_f64 v[74:75], v[40:41], s[10:11], v[62:63]
	v_fma_f64 v[62:63], v[40:41], s[0:1], v[62:63]
	v_fma_f64 v[60:61], v[42:43], s[0:1], v[60:61]
	ds_load_b128 v[40:43], v78
	v_add_f64_e32 v[48:49], v[48:49], v[58:59]
	v_add_f64_e32 v[50:51], v[50:51], v[56:57]
	global_wb scope:SCOPE_SE
	s_wait_dscnt 0x0
	s_barrier_signal -1
	s_barrier_wait -1
	global_inv scope:SCOPE_SE
	v_add_f64_e32 v[79:80], v[40:41], v[64:65]
	v_add_f64_e32 v[66:67], v[42:43], v[66:67]
	v_fma_f64 v[40:41], v[68:69], -0.5, v[40:41]
	v_fma_f64 v[42:43], v[70:71], -0.5, v[42:43]
	v_mul_f64_e32 v[54:55], s[0:1], v[72:73]
	v_mul_f64_e32 v[64:65], -0.5, v[74:75]
	v_mul_f64_e32 v[68:69], s[10:11], v[62:63]
	v_mul_f64_e32 v[70:71], -0.5, v[60:61]
	v_add_f64_e32 v[44:45], v[79:80], v[44:45]
	v_add_f64_e32 v[46:47], v[66:67], v[46:47]
	v_fma_f64 v[56:57], v[81:82], s[0:1], v[40:41]
	v_fma_f64 v[66:67], v[52:53], s[10:11], v[42:43]
	;; [unrolled: 1-line block ×4, first 2 shown]
	v_fma_f64 v[62:63], v[62:63], 0.5, v[54:55]
	v_fma_f64 v[60:61], v[60:61], s[0:1], v[64:65]
	v_fma_f64 v[64:65], v[72:73], 0.5, v[68:69]
	v_fma_f64 v[68:69], v[74:75], s[10:11], v[70:71]
	v_cmp_lt_u16_e64 s0, 10, v187
	v_add_f64_e32 v[40:41], v[44:45], v[48:49]
	v_add_f64_e32 v[42:43], v[46:47], v[50:51]
	v_add_f64_e64 v[44:45], v[44:45], -v[48:49]
	v_add_f64_e64 v[46:47], v[46:47], -v[50:51]
	v_add_f64_e32 v[48:49], v[56:57], v[62:63]
	v_add_f64_e32 v[52:53], v[58:59], v[60:61]
	;; [unrolled: 1-line block ×4, first 2 shown]
	v_add_f64_e64 v[56:57], v[56:57], -v[62:63]
	v_add_f64_e64 v[60:61], v[58:59], -v[60:61]
	;; [unrolled: 1-line block ×4, first 2 shown]
	s_wait_alu 0xf1ff
	v_cndmask_b32_e64 v64, 0, 0x42, s0
	s_delay_alu instid0(VALU_DEP_1) | instskip(SKIP_1) | instid1(VALU_DEP_2)
	v_add_nc_u32_e32 v64, v77, v64
	v_lshl_add_u32 v77, v187, 4, v190
	v_add_lshl_u32 v79, v188, v64, 4
	ds_store_b128 v79, v[40:43]
	ds_store_b128 v79, v[48:51] offset:176
	ds_store_b128 v79, v[52:55] offset:352
	;; [unrolled: 1-line block ×5, first 2 shown]
	global_wb scope:SCOPE_SE
	s_wait_dscnt 0x0
	s_barrier_signal -1
	s_barrier_wait -1
	global_inv scope:SCOPE_SE
	s_clause 0x2
	global_load_b128 v[40:43], v189, s[2:3] offset:880
	global_load_b128 v[44:47], v189, s[2:3] offset:1232
	global_load_b128 v[48:51], v189, s[2:3] offset:1584
	ds_load_b128 v[52:55], v78 offset:1056
	ds_load_b128 v[56:59], v78 offset:1408
	;; [unrolled: 1-line block ×4, first 2 shown]
	s_wait_loadcnt_dscnt 0x203
	v_mul_f64_e32 v[64:65], v[54:55], v[42:43]
	v_mul_f64_e32 v[66:67], v[52:53], v[42:43]
	s_wait_loadcnt_dscnt 0x102
	v_mul_f64_e32 v[68:69], v[58:59], v[46:47]
	v_mul_f64_e32 v[70:71], v[56:57], v[46:47]
	;; [unrolled: 3-line block ×3, first 2 shown]
	v_fma_f64 v[64:65], v[52:53], v[40:41], -v[64:65]
	v_fma_f64 v[66:67], v[54:55], v[40:41], v[66:67]
	v_fma_f64 v[56:57], v[56:57], v[44:45], -v[68:69]
	v_fma_f64 v[58:59], v[58:59], v[44:45], v[70:71]
	;; [unrolled: 2-line block ×3, first 2 shown]
	ds_load_b128 v[52:55], v78
	ds_load_b128 v[60:63], v78 offset:352
	s_wait_dscnt 0x1
	v_add_f64_e64 v[64:65], v[52:53], -v[64:65]
	v_add_f64_e64 v[66:67], v[54:55], -v[66:67]
	s_wait_dscnt 0x0
	v_add_f64_e64 v[68:69], v[60:61], -v[56:57]
	v_add_f64_e64 v[70:71], v[62:63], -v[58:59]
	;; [unrolled: 1-line block ×4, first 2 shown]
	v_fma_f64 v[52:53], v[52:53], 2.0, -v[64:65]
	v_fma_f64 v[54:55], v[54:55], 2.0, -v[66:67]
	v_fma_f64 v[72:73], v[60:61], 2.0, -v[68:69]
	v_fma_f64 v[74:75], v[62:63], 2.0, -v[70:71]
	v_fma_f64 v[60:61], v[80:81], 2.0, -v[56:57]
	v_fma_f64 v[62:63], v[82:83], 2.0, -v[58:59]
	v_add_nc_u32_e32 v80, v189, v190
	ds_store_b128 v77, v[68:71] offset:1408
	ds_store_b128 v77, v[52:55]
	ds_store_b128 v77, v[72:75] offset:352
	ds_store_b128 v77, v[64:67] offset:1056
	;; [unrolled: 1-line block ×4, first 2 shown]
	global_wb scope:SCOPE_SE
	s_wait_dscnt 0x0
	s_barrier_signal -1
	s_barrier_wait -1
	global_inv scope:SCOPE_SE
	s_and_saveexec_b32 s2, vcc_lo
	s_cbranch_execz .LBB0_9
; %bb.8:
	s_add_nc_u64 s[0:1], s[12:13], 0x840
	s_clause 0xa
	global_load_b128 v[81:84], v189, s[12:13] offset:2112
	global_load_b128 v[85:88], v189, s[0:1] offset:192
	;; [unrolled: 1-line block ×11, first 2 shown]
	ds_load_b128 v[125:128], v77
	ds_load_b128 v[129:132], v77 offset:192
	ds_load_b128 v[133:136], v77 offset:384
	;; [unrolled: 1-line block ×10, first 2 shown]
	s_wait_loadcnt_dscnt 0xa0a
	v_mul_f64_e32 v[169:170], v[127:128], v[83:84]
	v_mul_f64_e32 v[83:84], v[125:126], v[83:84]
	s_wait_loadcnt_dscnt 0x909
	v_mul_f64_e32 v[171:172], v[131:132], v[87:88]
	v_mul_f64_e32 v[87:88], v[129:130], v[87:88]
	;; [unrolled: 3-line block ×11, first 2 shown]
	v_fma_f64 v[123:124], v[125:126], v[81:82], -v[169:170]
	v_fma_f64 v[125:126], v[127:128], v[81:82], v[83:84]
	v_fma_f64 v[81:82], v[129:130], v[85:86], -v[171:172]
	v_fma_f64 v[83:84], v[131:132], v[85:86], v[87:88]
	;; [unrolled: 2-line block ×11, first 2 shown]
	ds_store_b128 v77, v[123:126]
	ds_store_b128 v77, v[81:84] offset:192
	ds_store_b128 v77, v[85:88] offset:384
	;; [unrolled: 1-line block ×10, first 2 shown]
.LBB0_9:
	s_wait_alu 0xfffe
	s_or_b32 exec_lo, exec_lo, s2
	global_wb scope:SCOPE_SE
	s_wait_dscnt 0x0
	s_barrier_signal -1
	s_barrier_wait -1
	global_inv scope:SCOPE_SE
	s_and_saveexec_b32 s0, vcc_lo
	s_cbranch_execz .LBB0_11
; %bb.10:
	ds_load_b128 v[52:55], v77
	ds_load_b128 v[64:67], v77 offset:192
	ds_load_b128 v[72:75], v77 offset:384
	;; [unrolled: 1-line block ×10, first 2 shown]
.LBB0_11:
	s_wait_alu 0xfffe
	s_or_b32 exec_lo, exec_lo, s0
	v_add_nc_u32_e32 v80, 0x2c0, v80
	global_wb scope:SCOPE_SE
	s_wait_dscnt 0x0
	s_barrier_signal -1
	s_barrier_wait -1
	global_inv scope:SCOPE_SE
	s_and_saveexec_b32 s18, vcc_lo
	s_cbranch_execz .LBB0_13
; %bb.12:
	v_add_f64_e32 v[81:82], v[54:55], v[66:67]
	v_add_f64_e32 v[83:84], v[52:53], v[64:65]
	v_add_f64_e64 v[97:98], v[64:65], -v[0:1]
	v_add_f64_e64 v[107:108], v[66:67], -v[2:3]
	;; [unrolled: 1-line block ×8, first 2 shown]
	v_add_f64_e32 v[109:110], v[70:71], v[10:11]
	v_add_f64_e32 v[115:116], v[68:69], v[8:9]
	s_mov_b32 s28, 0xfd768dbf
	s_mov_b32 s29, 0xbfd207e7
	v_add_f64_e64 v[95:96], v[72:73], -v[4:5]
	v_add_f64_e64 v[105:106], v[74:75], -v[6:7]
	v_add_f64_e32 v[66:67], v[66:67], v[2:3]
	v_add_f64_e32 v[64:65], v[64:65], v[0:1]
	s_mov_b32 s20, 0x43842ef
	s_mov_b32 s21, 0xbfefac9e
	;; [unrolled: 1-line block ×7, first 2 shown]
	s_wait_alu 0xfffe
	s_mov_b32 s30, s26
	v_add_f64_e32 v[91:92], v[62:63], v[14:15]
	v_add_f64_e32 v[113:114], v[60:61], v[12:13]
	s_mov_b32 s2, 0x9bcd5057
	s_mov_b32 s3, 0xbfeeb42a
	;; [unrolled: 1-line block ×10, first 2 shown]
	v_add_f64_e32 v[81:82], v[81:82], v[74:75]
	v_add_f64_e32 v[83:84], v[83:84], v[72:73]
	v_mul_f64_e32 v[125:126], s[28:29], v[97:98]
	v_mul_f64_e32 v[135:136], s[28:29], v[107:108]
	v_mul_f64_e32 v[151:152], s[24:25], v[107:108]
	v_mul_f64_e32 v[161:162], s[20:21], v[97:98]
	v_mul_f64_e32 v[171:172], s[20:21], v[107:108]
	v_mul_f64_e32 v[119:120], s[22:23], v[89:90]
	v_mul_f64_e32 v[129:130], s[22:23], v[101:102]
	v_mul_f64_e32 v[137:138], s[22:23], v[85:86]
	v_mul_f64_e32 v[157:158], s[22:23], v[93:94]
	v_mul_f64_e32 v[167:168], s[22:23], v[103:104]
	s_wait_alu 0xfffe
	v_mul_f64_e32 v[196:197], s[30:31], v[97:98]
	v_mul_f64_e32 v[198:199], s[30:31], v[107:108]
	v_add_f64_e32 v[74:75], v[74:75], v[6:7]
	v_add_f64_e32 v[72:73], v[72:73], v[4:5]
	v_mul_f64_e32 v[123:124], s[26:27], v[95:96]
	v_mul_f64_e32 v[133:134], s[26:27], v[105:106]
	;; [unrolled: 1-line block ×8, first 2 shown]
	s_mov_b32 s1, 0x3fda9628
	v_add_f64_e32 v[87:88], v[58:59], v[18:19]
	v_add_f64_e32 v[111:112], v[56:57], v[16:17]
	v_mul_f64_e32 v[141:142], s[30:31], v[93:94]
	v_mul_f64_e32 v[147:148], s[30:31], v[103:104]
	;; [unrolled: 1-line block ×11, first 2 shown]
	v_add_f64_e32 v[70:71], v[81:82], v[70:71]
	v_add_f64_e32 v[68:69], v[83:84], v[68:69]
	v_mul_f64_e32 v[81:82], s[24:25], v[97:98]
	v_mul_f64_e32 v[83:84], s[22:23], v[99:100]
	s_mov_b32 s23, 0xbfed1bb4
	v_fma_f64 v[204:205], v[66:67], s[2:3], v[125:126]
	s_wait_alu 0xfffe
	v_mul_f64_e32 v[97:98], s[22:23], v[97:98]
	v_mul_f64_e32 v[107:108], s[22:23], v[107:108]
	;; [unrolled: 1-line block ×3, first 2 shown]
	v_fma_f64 v[214:215], v[64:65], s[2:3], -v[135:136]
	v_fma_f64 v[218:219], v[64:65], s[14:15], -v[151:152]
	v_fma_f64 v[151:152], v[64:65], s[14:15], v[151:152]
	v_fma_f64 v[125:126], v[66:67], s[2:3], -v[125:126]
	v_fma_f64 v[135:136], v[64:65], s[2:3], v[135:136]
	v_fma_f64 v[220:221], v[66:67], s[16:17], v[161:162]
	v_fma_f64 v[222:223], v[64:65], s[16:17], -v[171:172]
	v_fma_f64 v[161:162], v[66:67], s[16:17], -v[161:162]
	v_fma_f64 v[171:172], v[64:65], s[16:17], v[171:172]
	v_fma_f64 v[224:225], v[66:67], s[10:11], v[196:197]
	v_fma_f64 v[196:197], v[66:67], s[10:11], -v[196:197]
	v_fma_f64 v[226:227], v[64:65], s[10:11], v[198:199]
	v_fma_f64 v[202:203], v[74:75], s[10:11], v[123:124]
	v_fma_f64 v[212:213], v[72:73], s[10:11], -v[133:134]
	v_fma_f64 v[123:124], v[74:75], s[10:11], -v[123:124]
	v_fma_f64 v[133:134], v[72:73], s[10:11], v[133:134]
	v_fma_f64 v[232:233], v[74:75], s[14:15], v[179:180]
	v_fma_f64 v[234:235], v[72:73], s[14:15], -v[194:195]
	v_fma_f64 v[179:180], v[74:75], s[14:15], -v[179:180]
	v_fma_f64 v[194:195], v[72:73], s[14:15], v[194:195]
	v_mul_f64_e32 v[165:166], s[30:31], v[101:102]
	v_mul_f64_e32 v[175:176], s[34:35], v[89:90]
	;; [unrolled: 1-line block ×5, first 2 shown]
	v_fma_f64 v[200:201], v[109:110], s[14:15], v[121:122]
	v_fma_f64 v[210:211], v[115:116], s[14:15], -v[131:132]
	v_fma_f64 v[121:122], v[109:110], s[14:15], -v[121:122]
	v_fma_f64 v[131:132], v[115:116], s[14:15], v[131:132]
	v_add_f64_e32 v[62:63], v[70:71], v[62:63]
	v_add_f64_e32 v[60:61], v[68:69], v[60:61]
	v_mul_f64_e32 v[68:69], s[22:23], v[105:106]
	v_fma_f64 v[216:217], v[66:67], s[14:15], v[81:82]
	v_fma_f64 v[81:82], v[66:67], s[14:15], -v[81:82]
	v_fma_f64 v[240:241], v[109:110], s[16:17], v[93:94]
	v_fma_f64 v[228:229], v[66:67], s[0:1], -v[97:98]
	v_fma_f64 v[230:231], v[64:65], s[0:1], v[107:108]
	v_fma_f64 v[66:67], v[66:67], s[0:1], v[97:98]
	v_fma_f64 v[97:98], v[64:65], s[0:1], -v[107:108]
	v_fma_f64 v[107:108], v[74:75], s[16:17], -v[143:144]
	v_fma_f64 v[236:237], v[74:75], s[0:1], v[95:96]
	v_add_f64_e32 v[151:152], v[52:53], v[151:152]
	v_add_f64_e32 v[125:126], v[54:55], v[125:126]
	;; [unrolled: 1-line block ×3, first 2 shown]
	v_fma_f64 v[242:243], v[115:116], s[16:17], -v[103:104]
	v_add_f64_e32 v[161:162], v[54:55], v[161:162]
	v_add_f64_e32 v[171:172], v[52:53], v[171:172]
	v_fma_f64 v[93:94], v[109:110], s[16:17], -v[93:94]
	v_add_f64_e32 v[196:197], v[54:55], v[196:197]
	v_fma_f64 v[103:104], v[115:116], s[16:17], v[103:104]
	v_mul_f64_e32 v[117:118], s[20:21], v[85:86]
	v_mul_f64_e32 v[127:128], s[20:21], v[99:100]
	;; [unrolled: 1-line block ×8, first 2 shown]
	v_fma_f64 v[105:106], v[91:92], s[0:1], v[119:120]
	v_fma_f64 v[208:209], v[113:114], s[0:1], -v[129:130]
	v_fma_f64 v[119:120], v[91:92], s[0:1], -v[119:120]
	v_fma_f64 v[129:130], v[113:114], s[0:1], v[129:130]
	v_add_f64_e32 v[58:59], v[62:63], v[58:59]
	v_add_f64_e32 v[56:57], v[60:61], v[56:57]
	v_fma_f64 v[60:61], v[64:65], s[10:11], -v[198:199]
	v_fma_f64 v[62:63], v[74:75], s[16:17], v[143:144]
	v_fma_f64 v[64:65], v[72:73], s[16:17], -v[149:150]
	v_fma_f64 v[143:144], v[72:73], s[16:17], v[149:150]
	v_fma_f64 v[149:150], v[74:75], s[2:3], v[159:160]
	v_fma_f64 v[198:199], v[72:73], s[2:3], -v[169:170]
	v_fma_f64 v[159:160], v[74:75], s[2:3], -v[159:160]
	v_fma_f64 v[169:170], v[72:73], s[2:3], v[169:170]
	v_fma_f64 v[238:239], v[72:73], s[0:1], -v[68:69]
	v_fma_f64 v[74:75], v[74:75], s[0:1], -v[95:96]
	v_fma_f64 v[68:69], v[72:73], s[0:1], v[68:69]
	v_add_f64_e32 v[72:73], v[54:55], v[204:205]
	v_add_f64_e32 v[95:96], v[52:53], v[214:215]
	;; [unrolled: 1-line block ×13, first 2 shown]
	v_fma_f64 v[97:98], v[115:116], s[10:11], v[147:148]
	v_fma_f64 v[228:229], v[109:110], s[2:3], v[177:178]
	v_fma_f64 v[230:231], v[115:116], s[2:3], -v[192:193]
	v_fma_f64 v[177:178], v[109:110], s[2:3], -v[177:178]
	v_fma_f64 v[192:193], v[115:116], s[2:3], v[192:193]
	v_fma_f64 v[70:71], v[87:88], s[16:17], v[117:118]
	v_fma_f64 v[206:207], v[111:112], s[16:17], -v[127:128]
	v_fma_f64 v[117:118], v[87:88], s[16:17], -v[117:118]
	v_fma_f64 v[127:128], v[111:112], s[16:17], v[127:128]
	v_add_f64_e32 v[18:19], v[58:59], v[18:19]
	v_add_f64_e32 v[16:17], v[56:57], v[16:17]
	;; [unrolled: 1-line block ×3, first 2 shown]
	v_fma_f64 v[56:57], v[109:110], s[10:11], v[141:142]
	v_fma_f64 v[58:59], v[115:116], s[10:11], -v[147:148]
	v_fma_f64 v[60:61], v[109:110], s[10:11], -v[141:142]
	v_fma_f64 v[141:142], v[109:110], s[0:1], v[157:158]
	v_fma_f64 v[147:148], v[115:116], s[0:1], -v[167:168]
	v_fma_f64 v[157:158], v[109:110], s[0:1], -v[157:158]
	v_fma_f64 v[167:168], v[115:116], s[0:1], v[167:168]
	v_add_f64_e32 v[109:110], v[123:124], v[125:126]
	v_add_f64_e32 v[115:116], v[133:134], v[135:136]
	;; [unrolled: 1-line block ×19, first 2 shown]
	v_fma_f64 v[159:160], v[91:92], s[10:11], v[155:156]
	v_fma_f64 v[155:156], v[91:92], s[10:11], -v[155:156]
	v_fma_f64 v[169:170], v[91:92], s[16:17], v[175:176]
	v_fma_f64 v[171:172], v[113:114], s[16:17], -v[183:184]
	v_fma_f64 v[175:176], v[91:92], s[16:17], -v[175:176]
	v_fma_f64 v[179:180], v[113:114], s[16:17], v[183:184]
	v_fma_f64 v[183:184], v[91:92], s[14:15], v[89:90]
	v_fma_f64 v[194:195], v[113:114], s[14:15], -v[101:102]
	v_fma_f64 v[89:90], v[91:92], s[14:15], -v[89:90]
	v_add_f64_e32 v[14:15], v[18:19], v[14:15]
	v_add_f64_e32 v[12:13], v[16:17], v[12:13]
	v_add_f64_e32 v[16:17], v[238:239], v[52:53]
	v_fma_f64 v[18:19], v[91:92], s[2:3], v[139:140]
	v_fma_f64 v[52:53], v[113:114], s[2:3], -v[145:146]
	v_fma_f64 v[139:140], v[91:92], s[2:3], -v[139:140]
	v_fma_f64 v[145:146], v[113:114], s[2:3], v[145:146]
	v_fma_f64 v[91:92], v[113:114], s[14:15], v[101:102]
	v_fma_f64 v[161:162], v[113:114], s[10:11], -v[165:166]
	v_fma_f64 v[165:166], v[113:114], s[10:11], v[165:166]
	v_add_f64_e32 v[101:102], v[121:122], v[109:110]
	v_add_f64_e32 v[109:110], v[131:132], v[115:116]
	v_fma_f64 v[115:116], v[87:88], s[0:1], -v[137:138]
	v_add_f64_e32 v[72:73], v[200:201], v[72:73]
	v_add_f64_e32 v[95:96], v[210:211], v[95:96]
	;; [unrolled: 1-line block ×17, first 2 shown]
	v_fma_f64 v[121:122], v[87:88], s[14:15], v[153:154]
	v_fma_f64 v[125:126], v[87:88], s[14:15], -v[153:154]
	v_fma_f64 v[133:134], v[87:88], s[10:11], v[173:174]
	v_fma_f64 v[143:144], v[87:88], s[2:3], v[85:86]
	v_fma_f64 v[147:148], v[111:112], s[2:3], -v[99:100]
	v_fma_f64 v[85:86], v[87:88], s[2:3], -v[85:86]
	v_fma_f64 v[131:132], v[111:112], s[14:15], v[163:164]
	v_fma_f64 v[123:124], v[111:112], s[14:15], -v[163:164]
	v_add_f64_e32 v[10:11], v[14:15], v[10:11]
	v_add_f64_e32 v[8:9], v[12:13], v[8:9]
	;; [unrolled: 1-line block ×3, first 2 shown]
	v_fma_f64 v[14:15], v[87:88], s[0:1], v[137:138]
	v_fma_f64 v[16:17], v[111:112], s[0:1], -v[83:84]
	v_fma_f64 v[83:84], v[111:112], s[0:1], v[83:84]
	v_fma_f64 v[137:138], v[87:88], s[10:11], -v[173:174]
	v_fma_f64 v[87:88], v[111:112], s[2:3], v[99:100]
	v_fma_f64 v[141:142], v[111:112], s[10:11], v[181:182]
	v_fma_f64 v[135:136], v[111:112], s[10:11], -v[181:182]
	v_add_f64_e32 v[99:100], v[119:120], v[101:102]
	v_add_f64_e32 v[101:102], v[129:130], v[109:110]
	;; [unrolled: 1-line block ×41, first 2 shown]
	v_and_b32_e32 v81, 0xffff, v191
	s_delay_alu instid0(VALU_DEP_1)
	v_lshl_add_u32 v81, v81, 4, v190
	v_add_f64_e32 v[2:3], v[105:106], v[2:3]
	v_add_f64_e32 v[0:1], v[107:108], v[0:1]
	;; [unrolled: 1-line block ×3, first 2 shown]
	ds_store_b128 v81, v[16:19] offset:64
	ds_store_b128 v81, v[8:11] offset:80
	;; [unrolled: 1-line block ×9, first 2 shown]
	ds_store_b128 v81, v[0:3]
	ds_store_b128 v81, v[60:63] offset:160
.LBB0_13:
	s_wait_alu 0xfffe
	s_or_b32 exec_lo, exec_lo, s18
	global_wb scope:SCOPE_SE
	s_wait_dscnt 0x0
	s_barrier_signal -1
	s_barrier_wait -1
	global_inv scope:SCOPE_SE
	ds_load_b128 v[0:3], v78 offset:1056
	ds_load_b128 v[4:7], v78 offset:1760
	;; [unrolled: 1-line block ×3, first 2 shown]
	s_mov_b32 s0, 0xe8584caa
	s_mov_b32 s1, 0xbfebb67a
	s_mov_b32 s3, 0x3febb67a
	s_wait_alu 0xfffe
	s_mov_b32 s2, s0
	s_wait_dscnt 0x2
	v_mul_f64_e32 v[12:13], v[22:23], v[0:1]
	s_wait_dscnt 0x1
	v_mul_f64_e32 v[14:15], v[38:39], v[4:5]
	;; [unrolled: 2-line block ×3, first 2 shown]
	v_mul_f64_e32 v[22:23], v[22:23], v[2:3]
	v_mul_f64_e32 v[38:39], v[38:39], v[6:7]
	v_fma_f64 v[54:55], v[20:21], v[2:3], -v[12:13]
	v_fma_f64 v[6:7], v[36:37], v[6:7], -v[14:15]
	ds_load_b128 v[12:15], v78 offset:704
	ds_load_b128 v[16:19], v78 offset:1408
	v_mul_f64_e32 v[2:3], v[26:27], v[10:11]
	v_fma_f64 v[20:21], v[20:21], v[0:1], v[22:23]
	v_fma_f64 v[4:5], v[36:37], v[4:5], v[38:39]
	v_fma_f64 v[10:11], v[24:25], v[10:11], -v[52:53]
	s_wait_dscnt 0x1
	v_mul_f64_e32 v[26:27], v[34:35], v[14:15]
	v_mul_f64_e32 v[34:35], v[34:35], v[12:13]
	s_wait_dscnt 0x0
	v_mul_f64_e32 v[56:57], v[30:31], v[18:19]
	v_mul_f64_e32 v[30:31], v[30:31], v[16:17]
	v_add_f64_e32 v[0:1], v[54:55], v[6:7]
	v_fma_f64 v[8:9], v[24:25], v[8:9], v[2:3]
	v_add_f64_e32 v[2:3], v[20:21], v[4:5]
	v_add_f64_e64 v[22:23], v[20:21], -v[4:5]
	v_fma_f64 v[12:13], v[32:33], v[12:13], v[26:27]
	v_fma_f64 v[14:15], v[32:33], v[14:15], -v[34:35]
	v_fma_f64 v[16:17], v[28:29], v[16:17], v[56:57]
	v_fma_f64 v[18:19], v[28:29], v[18:19], -v[30:31]
	v_add_f64_e64 v[28:29], v[54:55], -v[6:7]
	v_fma_f64 v[0:1], v[0:1], -0.5, v[10:11]
	v_add_f64_e32 v[10:11], v[10:11], v[54:55]
	v_fma_f64 v[30:31], v[2:3], -0.5, v[8:9]
	v_add_f64_e32 v[8:9], v[8:9], v[20:21]
	v_add_f64_e32 v[24:25], v[12:13], v[16:17]
	;; [unrolled: 1-line block ×3, first 2 shown]
	v_add_f64_e64 v[36:37], v[14:15], -v[18:19]
	s_wait_alu 0xfffe
	v_fma_f64 v[32:33], v[22:23], s[2:3], v[0:1]
	v_fma_f64 v[22:23], v[22:23], s[0:1], v[0:1]
	ds_load_b128 v[0:3], v78
	v_add_f64_e32 v[6:7], v[10:11], v[6:7]
	v_fma_f64 v[20:21], v[28:29], s[0:1], v[30:31]
	v_add_f64_e32 v[4:5], v[8:9], v[4:5]
	global_wb scope:SCOPE_SE
	s_wait_dscnt 0x0
	s_barrier_signal -1
	s_barrier_wait -1
	global_inv scope:SCOPE_SE
	v_add_f64_e32 v[34:35], v[0:1], v[12:13]
	v_add_f64_e32 v[14:15], v[2:3], v[14:15]
	v_add_f64_e64 v[12:13], v[12:13], -v[16:17]
	v_fma_f64 v[0:1], v[24:25], -0.5, v[0:1]
	v_fma_f64 v[2:3], v[26:27], -0.5, v[2:3]
	v_fma_f64 v[24:25], v[28:29], s[2:3], v[30:31]
	v_mul_f64_e32 v[26:27], s[0:1], v[32:33]
	v_mul_f64_e32 v[30:31], 0.5, v[32:33]
	v_mul_f64_e32 v[28:29], s[0:1], v[22:23]
	v_mul_f64_e32 v[22:23], -0.5, v[22:23]
	v_add_f64_e32 v[16:17], v[34:35], v[16:17]
	v_add_f64_e32 v[14:15], v[14:15], v[18:19]
	v_fma_f64 v[18:19], v[36:37], s[0:1], v[0:1]
	v_fma_f64 v[34:35], v[12:13], s[2:3], v[2:3]
	;; [unrolled: 1-line block ×4, first 2 shown]
	v_fma_f64 v[26:27], v[20:21], 0.5, v[26:27]
	v_fma_f64 v[30:31], v[20:21], s[2:3], v[30:31]
	v_fma_f64 v[28:29], v[24:25], -0.5, v[28:29]
	v_fma_f64 v[22:23], v[24:25], s[2:3], v[22:23]
	v_add_f64_e32 v[0:1], v[16:17], v[4:5]
	v_add_f64_e32 v[2:3], v[14:15], v[6:7]
	v_add_f64_e64 v[6:7], v[14:15], -v[6:7]
	v_add_f64_e64 v[4:5], v[16:17], -v[4:5]
	v_add_f64_e32 v[8:9], v[18:19], v[26:27]
	v_add_f64_e32 v[10:11], v[34:35], v[30:31]
	;; [unrolled: 1-line block ×4, first 2 shown]
	v_add_f64_e64 v[16:17], v[18:19], -v[26:27]
	v_add_f64_e64 v[18:19], v[34:35], -v[30:31]
	;; [unrolled: 1-line block ×4, first 2 shown]
	ds_store_b128 v79, v[0:3]
	ds_store_b128 v79, v[8:11] offset:176
	ds_store_b128 v79, v[12:15] offset:352
	;; [unrolled: 1-line block ×5, first 2 shown]
	global_wb scope:SCOPE_SE
	s_wait_dscnt 0x0
	s_barrier_signal -1
	s_barrier_wait -1
	global_inv scope:SCOPE_SE
	ds_load_b128 v[0:3], v78 offset:1056
	ds_load_b128 v[4:7], v78 offset:1408
	;; [unrolled: 1-line block ×4, first 2 shown]
	s_wait_dscnt 0x3
	v_mul_f64_e32 v[16:17], v[42:43], v[2:3]
	v_mul_f64_e32 v[18:19], v[42:43], v[0:1]
	s_wait_dscnt 0x2
	v_mul_f64_e32 v[20:21], v[46:47], v[6:7]
	v_mul_f64_e32 v[22:23], v[46:47], v[4:5]
	;; [unrolled: 3-line block ×3, first 2 shown]
	v_fma_f64 v[16:17], v[40:41], v[0:1], v[16:17]
	v_fma_f64 v[18:19], v[40:41], v[2:3], -v[18:19]
	v_fma_f64 v[20:21], v[44:45], v[4:5], v[20:21]
	v_fma_f64 v[22:23], v[44:45], v[6:7], -v[22:23]
	;; [unrolled: 2-line block ×3, first 2 shown]
	ds_load_b128 v[0:3], v78
	ds_load_b128 v[4:7], v78 offset:352
	s_wait_dscnt 0x1
	v_add_f64_e64 v[8:9], v[0:1], -v[16:17]
	v_add_f64_e64 v[10:11], v[2:3], -v[18:19]
	s_wait_dscnt 0x0
	v_add_f64_e64 v[16:17], v[4:5], -v[20:21]
	v_add_f64_e64 v[18:19], v[6:7], -v[22:23]
	;; [unrolled: 1-line block ×4, first 2 shown]
	v_fma_f64 v[0:1], v[0:1], 2.0, -v[8:9]
	v_fma_f64 v[2:3], v[2:3], 2.0, -v[10:11]
	;; [unrolled: 1-line block ×6, first 2 shown]
	ds_store_b128 v77, v[16:19] offset:1408
	ds_store_b128 v77, v[0:3]
	ds_store_b128 v77, v[4:7] offset:352
	ds_store_b128 v77, v[8:11] offset:1056
	;; [unrolled: 1-line block ×4, first 2 shown]
	global_wb scope:SCOPE_SE
	s_wait_dscnt 0x0
	s_barrier_signal -1
	s_barrier_wait -1
	global_inv scope:SCOPE_SE
	s_and_b32 exec_lo, exec_lo, vcc_lo
	s_cbranch_execz .LBB0_15
; %bb.14:
	s_clause 0xa
	global_load_b128 v[0:3], v189, s[12:13]
	global_load_b128 v[4:7], v189, s[12:13] offset:192
	global_load_b128 v[8:11], v189, s[12:13] offset:384
	;; [unrolled: 1-line block ×10, first 2 shown]
	v_mad_co_u64_u32 v[78:79], null, s6, v76, 0
	v_mad_co_u64_u32 v[88:89], null, s4, v187, 0
	v_lshl_add_u32 v84, v188, 4, v189
	s_mul_u64 s[0:1], s[4:5], 0xc0
	v_mad_co_u64_u32 v[112:113], null, s4, v185, 0
	s_delay_alu instid0(VALU_DEP_4) | instskip(SKIP_3) | instid1(VALU_DEP_3)
	v_mov_b32_e32 v44, v79
	v_mad_co_u64_u32 v[116:117], null, s4, v186, 0
	v_mov_b32_e32 v52, v89
	s_mov_b32 s2, 0xf07c1f08
	v_mad_co_u64_u32 v[60:61], null, s7, v76, v[44:45]
	ds_load_b128 v[44:47], v77
	ds_load_b128 v[48:51], v84 offset:192
	v_mad_co_u64_u32 v[76:77], null, s5, v187, v[52:53]
	ds_load_b128 v[52:55], v84 offset:384
	ds_load_b128 v[56:59], v84 offset:576
	s_mov_b32 s3, 0x3f7f07c1
	s_mul_i32 s6, s5, 0x180
	v_mov_b32_e32 v79, v60
	ds_load_b128 v[60:63], v84 offset:768
	ds_load_b128 v[64:67], v84 offset:960
	;; [unrolled: 1-line block ×4, first 2 shown]
	v_mov_b32_e32 v89, v76
	v_lshlrev_b64_e32 v[90:91], 4, v[78:79]
	ds_load_b128 v[76:79], v84 offset:1536
	ds_load_b128 v[80:83], v84 offset:1728
	;; [unrolled: 1-line block ×3, first 2 shown]
	v_lshlrev_b64_e32 v[88:89], 4, v[88:89]
	v_add_co_u32 v120, vcc_lo, s8, v90
	v_add_co_ci_u32_e32 v121, vcc_lo, s9, v91, vcc_lo
	s_delay_alu instid0(VALU_DEP_2) | instskip(SKIP_1) | instid1(VALU_DEP_2)
	v_add_co_u32 v88, vcc_lo, v120, v88
	s_wait_alu 0xfffd
	v_add_co_ci_u32_e32 v89, vcc_lo, v121, v89, vcc_lo
	s_wait_alu 0xfffe
	s_delay_alu instid0(VALU_DEP_2) | instskip(SKIP_1) | instid1(VALU_DEP_2)
	v_add_co_u32 v114, vcc_lo, v88, s0
	s_wait_alu 0xfffd
	v_add_co_ci_u32_e32 v115, vcc_lo, s1, v89, vcc_lo
	s_delay_alu instid0(VALU_DEP_2) | instskip(SKIP_1) | instid1(VALU_DEP_2)
	v_add_co_u32 v118, vcc_lo, v114, s0
	s_wait_alu 0xfffd
	v_add_co_ci_u32_e32 v119, vcc_lo, s1, v115, vcc_lo
	s_wait_loadcnt_dscnt 0xa0a
	v_mul_f64_e32 v[90:91], v[46:47], v[2:3]
	v_mul_f64_e32 v[2:3], v[44:45], v[2:3]
	s_wait_loadcnt_dscnt 0x909
	v_mul_f64_e32 v[92:93], v[50:51], v[6:7]
	v_mul_f64_e32 v[6:7], v[48:49], v[6:7]
	;; [unrolled: 3-line block ×11, first 2 shown]
	v_fma_f64 v[44:45], v[44:45], v[0:1], v[90:91]
	v_fma_f64 v[2:3], v[0:1], v[46:47], -v[2:3]
	v_fma_f64 v[46:47], v[48:49], v[4:5], v[92:93]
	v_fma_f64 v[6:7], v[4:5], v[50:51], -v[6:7]
	;; [unrolled: 2-line block ×11, first 2 shown]
	v_dual_mov_b32 v0, v113 :: v_dual_mov_b32 v1, v117
	v_add_co_u32 v66, vcc_lo, v118, s0
	s_wait_alu 0xfffd
	v_add_co_ci_u32_e32 v67, vcc_lo, s1, v119, vcc_lo
	s_delay_alu instid0(VALU_DEP_3) | instskip(NEXT) | instid1(VALU_DEP_2)
	v_mad_co_u64_u32 v[70:71], null, s5, v185, v[0:1]
	v_mad_co_u64_u32 v[68:69], null, 0x180, s4, v[66:67]
	s_delay_alu instid0(VALU_DEP_2) | instskip(NEXT) | instid1(VALU_DEP_2)
	v_mov_b32_e32 v113, v70
	v_add_nc_u32_e32 v69, s6, v69
	v_mad_co_u64_u32 v[71:72], null, s5, v186, v[1:2]
	v_mul_f64_e32 v[0:1], s[2:3], v[44:45]
	v_mul_f64_e32 v[2:3], s[2:3], v[2:3]
	;; [unrolled: 1-line block ×22, first 2 shown]
	v_add_co_u32 v44, vcc_lo, v68, s0
	s_wait_alu 0xfffd
	v_add_co_ci_u32_e32 v45, vcc_lo, s1, v69, vcc_lo
	v_mov_b32_e32 v117, v71
	s_delay_alu instid0(VALU_DEP_3) | instskip(SKIP_1) | instid1(VALU_DEP_3)
	v_add_co_u32 v46, vcc_lo, v44, s0
	s_wait_alu 0xfffd
	v_add_co_ci_u32_e32 v47, vcc_lo, s1, v45, vcc_lo
	v_lshlrev_b64_e32 v[48:49], 4, v[112:113]
	v_lshlrev_b64_e32 v[52:53], 4, v[116:117]
	s_delay_alu instid0(VALU_DEP_3) | instskip(NEXT) | instid1(VALU_DEP_3)
	v_mad_co_u64_u32 v[50:51], null, 0x180, s4, v[46:47]
	v_add_co_u32 v48, vcc_lo, v120, v48
	s_wait_alu 0xfffd
	s_delay_alu instid0(VALU_DEP_4) | instskip(NEXT) | instid1(VALU_DEP_4)
	v_add_co_ci_u32_e32 v49, vcc_lo, v121, v49, vcc_lo
	v_add_co_u32 v52, vcc_lo, v120, v52
	s_delay_alu instid0(VALU_DEP_4)
	v_add_nc_u32_e32 v51, s6, v51
	s_wait_alu 0xfffd
	v_add_co_ci_u32_e32 v53, vcc_lo, v121, v53, vcc_lo
	v_add_co_u32 v54, vcc_lo, v50, s0
	s_wait_alu 0xfffd
	v_add_co_ci_u32_e32 v55, vcc_lo, s1, v51, vcc_lo
	s_clause 0x5
	global_store_b128 v[88:89], v[0:3], off
	global_store_b128 v[114:115], v[4:7], off
	;; [unrolled: 1-line block ×11, first 2 shown]
.LBB0_15:
	s_nop 0
	s_sendmsg sendmsg(MSG_DEALLOC_VGPRS)
	s_endpgm
	.section	.rodata,"a",@progbits
	.p2align	6, 0x0
	.amdhsa_kernel bluestein_single_fwd_len132_dim1_dp_op_CI_CI
		.amdhsa_group_segment_fixed_size 10560
		.amdhsa_private_segment_fixed_size 0
		.amdhsa_kernarg_size 104
		.amdhsa_user_sgpr_count 2
		.amdhsa_user_sgpr_dispatch_ptr 0
		.amdhsa_user_sgpr_queue_ptr 0
		.amdhsa_user_sgpr_kernarg_segment_ptr 1
		.amdhsa_user_sgpr_dispatch_id 0
		.amdhsa_user_sgpr_private_segment_size 0
		.amdhsa_wavefront_size32 1
		.amdhsa_uses_dynamic_stack 0
		.amdhsa_enable_private_segment 0
		.amdhsa_system_sgpr_workgroup_id_x 1
		.amdhsa_system_sgpr_workgroup_id_y 0
		.amdhsa_system_sgpr_workgroup_id_z 0
		.amdhsa_system_sgpr_workgroup_info 0
		.amdhsa_system_vgpr_workitem_id 0
		.amdhsa_next_free_vgpr 244
		.amdhsa_next_free_sgpr 38
		.amdhsa_reserve_vcc 1
		.amdhsa_float_round_mode_32 0
		.amdhsa_float_round_mode_16_64 0
		.amdhsa_float_denorm_mode_32 3
		.amdhsa_float_denorm_mode_16_64 3
		.amdhsa_fp16_overflow 0
		.amdhsa_workgroup_processor_mode 1
		.amdhsa_memory_ordered 1
		.amdhsa_forward_progress 0
		.amdhsa_round_robin_scheduling 0
		.amdhsa_exception_fp_ieee_invalid_op 0
		.amdhsa_exception_fp_denorm_src 0
		.amdhsa_exception_fp_ieee_div_zero 0
		.amdhsa_exception_fp_ieee_overflow 0
		.amdhsa_exception_fp_ieee_underflow 0
		.amdhsa_exception_fp_ieee_inexact 0
		.amdhsa_exception_int_div_zero 0
	.end_amdhsa_kernel
	.text
.Lfunc_end0:
	.size	bluestein_single_fwd_len132_dim1_dp_op_CI_CI, .Lfunc_end0-bluestein_single_fwd_len132_dim1_dp_op_CI_CI
                                        ; -- End function
	.section	.AMDGPU.csdata,"",@progbits
; Kernel info:
; codeLenInByte = 9660
; NumSgprs: 40
; NumVgprs: 244
; ScratchSize: 0
; MemoryBound: 0
; FloatMode: 240
; IeeeMode: 1
; LDSByteSize: 10560 bytes/workgroup (compile time only)
; SGPRBlocks: 4
; VGPRBlocks: 30
; NumSGPRsForWavesPerEU: 40
; NumVGPRsForWavesPerEU: 244
; Occupancy: 5
; WaveLimiterHint : 1
; COMPUTE_PGM_RSRC2:SCRATCH_EN: 0
; COMPUTE_PGM_RSRC2:USER_SGPR: 2
; COMPUTE_PGM_RSRC2:TRAP_HANDLER: 0
; COMPUTE_PGM_RSRC2:TGID_X_EN: 1
; COMPUTE_PGM_RSRC2:TGID_Y_EN: 0
; COMPUTE_PGM_RSRC2:TGID_Z_EN: 0
; COMPUTE_PGM_RSRC2:TIDIG_COMP_CNT: 0
	.text
	.p2alignl 7, 3214868480
	.fill 96, 4, 3214868480
	.type	__hip_cuid_4eb819fa62e8baa8,@object ; @__hip_cuid_4eb819fa62e8baa8
	.section	.bss,"aw",@nobits
	.globl	__hip_cuid_4eb819fa62e8baa8
__hip_cuid_4eb819fa62e8baa8:
	.byte	0                               ; 0x0
	.size	__hip_cuid_4eb819fa62e8baa8, 1

	.ident	"AMD clang version 19.0.0git (https://github.com/RadeonOpenCompute/llvm-project roc-6.4.0 25133 c7fe45cf4b819c5991fe208aaa96edf142730f1d)"
	.section	".note.GNU-stack","",@progbits
	.addrsig
	.addrsig_sym __hip_cuid_4eb819fa62e8baa8
	.amdgpu_metadata
---
amdhsa.kernels:
  - .args:
      - .actual_access:  read_only
        .address_space:  global
        .offset:         0
        .size:           8
        .value_kind:     global_buffer
      - .actual_access:  read_only
        .address_space:  global
        .offset:         8
        .size:           8
        .value_kind:     global_buffer
      - .actual_access:  read_only
        .address_space:  global
        .offset:         16
        .size:           8
        .value_kind:     global_buffer
      - .actual_access:  read_only
        .address_space:  global
        .offset:         24
        .size:           8
        .value_kind:     global_buffer
      - .actual_access:  read_only
        .address_space:  global
        .offset:         32
        .size:           8
        .value_kind:     global_buffer
      - .offset:         40
        .size:           8
        .value_kind:     by_value
      - .address_space:  global
        .offset:         48
        .size:           8
        .value_kind:     global_buffer
      - .address_space:  global
        .offset:         56
        .size:           8
        .value_kind:     global_buffer
      - .address_space:  global
        .offset:         64
        .size:           8
        .value_kind:     global_buffer
      - .address_space:  global
        .offset:         72
        .size:           8
        .value_kind:     global_buffer
      - .offset:         80
        .size:           4
        .value_kind:     by_value
      - .address_space:  global
        .offset:         88
        .size:           8
        .value_kind:     global_buffer
      - .address_space:  global
        .offset:         96
        .size:           8
        .value_kind:     global_buffer
    .group_segment_fixed_size: 10560
    .kernarg_segment_align: 8
    .kernarg_segment_size: 104
    .language:       OpenCL C
    .language_version:
      - 2
      - 0
    .max_flat_workgroup_size: 110
    .name:           bluestein_single_fwd_len132_dim1_dp_op_CI_CI
    .private_segment_fixed_size: 0
    .sgpr_count:     40
    .sgpr_spill_count: 0
    .symbol:         bluestein_single_fwd_len132_dim1_dp_op_CI_CI.kd
    .uniform_work_group_size: 1
    .uses_dynamic_stack: false
    .vgpr_count:     244
    .vgpr_spill_count: 0
    .wavefront_size: 32
    .workgroup_processor_mode: 1
amdhsa.target:   amdgcn-amd-amdhsa--gfx1201
amdhsa.version:
  - 1
  - 2
...

	.end_amdgpu_metadata
